;; amdgpu-corpus repo=zjin-lcf/HeCBench kind=compiled arch=gfx1250 opt=O3
	.amdgcn_target "amdgcn-amd-amdhsa--gfx1250"
	.amdhsa_code_object_version 6
	.text
	.protected	_Z16findMovingPixelsmPKhS0_S0_S0_Ph ; -- Begin function _Z16findMovingPixelsmPKhS0_S0_S0_Ph
	.globl	_Z16findMovingPixelsmPKhS0_S0_S0_Ph
	.p2align	8
	.type	_Z16findMovingPixelsmPKhS0_S0_S0_Ph,@function
_Z16findMovingPixelsmPKhS0_S0_S0_Ph:    ; @_Z16findMovingPixelsmPKhS0_S0_S0_Ph
; %bb.0:
	s_clause 0x1
	s_load_b32 s4, s[0:1], 0x3c
	s_load_b64 s[2:3], s[0:1], 0x0
	s_bfe_u32 s5, ttmp6, 0x4000c
	s_and_b32 s6, ttmp6, 15
	s_add_co_i32 s5, s5, 1
	s_getreg_b32 s7, hwreg(HW_REG_IB_STS2, 6, 4)
	s_mul_i32 s5, ttmp9, s5
	v_mov_b32_e32 v1, 0
	s_add_co_i32 s6, s6, s5
	s_wait_kmcnt 0x0
	s_and_b32 s4, s4, 0xffff
	s_cmp_eq_u32 s7, 0
	s_cselect_b32 s5, ttmp9, s6
	s_delay_alu instid0(SALU_CYCLE_1) | instskip(NEXT) | instid1(VALU_DEP_1)
	v_mad_u32 v0, s5, s4, v0
	v_cmp_gt_u64_e32 vcc_lo, s[2:3], v[0:1]
	s_and_saveexec_b32 s2, vcc_lo
	s_cbranch_execz .LBB0_4
; %bb.1:
	s_clause 0x1
	s_load_b128 s[8:11], s[0:1], 0x8
	s_load_b128 s[4:7], s[0:1], 0x20
	s_wait_kmcnt 0x0
	v_add_nc_u64_e32 v[4:5], s[8:9], v[0:1]
	v_add_nc_u64_e32 v[6:7], s[10:11], v[0:1]
	global_load_u8 v2, v[4:5], off
	global_load_u8 v8, v[6:7], off
	s_wait_xcnt 0x1
	v_add_nc_u64_e32 v[4:5], s[4:5], v[0:1]
	global_load_u8 v3, v[4:5], off
	s_wait_loadcnt 0x1
	s_wait_xcnt 0x0
	v_min_u16 v4, v2, v8
	v_max_u16 v5, v2, v8
	s_delay_alu instid0(VALU_DEP_1) | instskip(NEXT) | instid1(VALU_DEP_1)
	v_sub_nc_u16 v4, v5, v4
	v_and_b32_e32 v4, 0xffff, v4
	s_wait_loadcnt 0x0
	s_delay_alu instid0(VALU_DEP_1)
	v_cmp_le_u32_e32 vcc_lo, v4, v3
	v_mov_b32_e32 v4, 0xff
	s_and_saveexec_b32 s2, vcc_lo
	s_cbranch_execz .LBB0_3
; %bb.2:
	s_load_b64 s[0:1], s[0:1], 0x18
	v_and_b32_e32 v2, 0xffff, v2
	s_wait_kmcnt 0x0
	v_add_nc_u64_e32 v[4:5], s[0:1], v[0:1]
	global_load_u8 v4, v[4:5], off
	s_wait_loadcnt 0x0
	v_sub_nc_u32_e32 v2, v2, v4
	s_delay_alu instid0(VALU_DEP_1) | instskip(NEXT) | instid1(VALU_DEP_1)
	v_sub_nc_u32_e32 v4, 0, v2
	v_max_i32_e32 v2, v2, v4
	s_delay_alu instid0(VALU_DEP_1)
	v_cmp_gt_u32_e32 vcc_lo, v2, v3
	v_cndmask_b32_e64 v4, 0, -1, vcc_lo
.LBB0_3:
	s_or_b32 exec_lo, exec_lo, s2
	v_add_nc_u64_e32 v[0:1], s[6:7], v[0:1]
	global_store_b8 v[0:1], v4, off
.LBB0_4:
	s_endpgm
	.section	.rodata,"a",@progbits
	.p2align	6, 0x0
	.amdhsa_kernel _Z16findMovingPixelsmPKhS0_S0_S0_Ph
		.amdhsa_group_segment_fixed_size 0
		.amdhsa_private_segment_fixed_size 0
		.amdhsa_kernarg_size 304
		.amdhsa_user_sgpr_count 2
		.amdhsa_user_sgpr_dispatch_ptr 0
		.amdhsa_user_sgpr_queue_ptr 0
		.amdhsa_user_sgpr_kernarg_segment_ptr 1
		.amdhsa_user_sgpr_dispatch_id 0
		.amdhsa_user_sgpr_kernarg_preload_length 0
		.amdhsa_user_sgpr_kernarg_preload_offset 0
		.amdhsa_user_sgpr_private_segment_size 0
		.amdhsa_wavefront_size32 1
		.amdhsa_uses_dynamic_stack 0
		.amdhsa_enable_private_segment 0
		.amdhsa_system_sgpr_workgroup_id_x 1
		.amdhsa_system_sgpr_workgroup_id_y 0
		.amdhsa_system_sgpr_workgroup_id_z 0
		.amdhsa_system_sgpr_workgroup_info 0
		.amdhsa_system_vgpr_workitem_id 0
		.amdhsa_next_free_vgpr 9
		.amdhsa_next_free_sgpr 12
		.amdhsa_named_barrier_count 0
		.amdhsa_reserve_vcc 1
		.amdhsa_float_round_mode_32 0
		.amdhsa_float_round_mode_16_64 0
		.amdhsa_float_denorm_mode_32 3
		.amdhsa_float_denorm_mode_16_64 3
		.amdhsa_fp16_overflow 0
		.amdhsa_memory_ordered 1
		.amdhsa_forward_progress 1
		.amdhsa_inst_pref_size 3
		.amdhsa_round_robin_scheduling 0
		.amdhsa_exception_fp_ieee_invalid_op 0
		.amdhsa_exception_fp_denorm_src 0
		.amdhsa_exception_fp_ieee_div_zero 0
		.amdhsa_exception_fp_ieee_overflow 0
		.amdhsa_exception_fp_ieee_underflow 0
		.amdhsa_exception_fp_ieee_inexact 0
		.amdhsa_exception_int_div_zero 0
	.end_amdhsa_kernel
	.text
.Lfunc_end0:
	.size	_Z16findMovingPixelsmPKhS0_S0_S0_Ph, .Lfunc_end0-_Z16findMovingPixelsmPKhS0_S0_S0_Ph
                                        ; -- End function
	.set _Z16findMovingPixelsmPKhS0_S0_S0_Ph.num_vgpr, 9
	.set _Z16findMovingPixelsmPKhS0_S0_S0_Ph.num_agpr, 0
	.set _Z16findMovingPixelsmPKhS0_S0_S0_Ph.numbered_sgpr, 12
	.set _Z16findMovingPixelsmPKhS0_S0_S0_Ph.num_named_barrier, 0
	.set _Z16findMovingPixelsmPKhS0_S0_S0_Ph.private_seg_size, 0
	.set _Z16findMovingPixelsmPKhS0_S0_S0_Ph.uses_vcc, 1
	.set _Z16findMovingPixelsmPKhS0_S0_S0_Ph.uses_flat_scratch, 0
	.set _Z16findMovingPixelsmPKhS0_S0_S0_Ph.has_dyn_sized_stack, 0
	.set _Z16findMovingPixelsmPKhS0_S0_S0_Ph.has_recursion, 0
	.set _Z16findMovingPixelsmPKhS0_S0_S0_Ph.has_indirect_call, 0
	.section	.AMDGPU.csdata,"",@progbits
; Kernel info:
; codeLenInByte = 340
; TotalNumSgprs: 14
; NumVgprs: 9
; ScratchSize: 0
; MemoryBound: 0
; FloatMode: 240
; IeeeMode: 1
; LDSByteSize: 0 bytes/workgroup (compile time only)
; SGPRBlocks: 0
; VGPRBlocks: 0
; NumSGPRsForWavesPerEU: 14
; NumVGPRsForWavesPerEU: 9
; NamedBarCnt: 0
; Occupancy: 16
; WaveLimiterHint : 0
; COMPUTE_PGM_RSRC2:SCRATCH_EN: 0
; COMPUTE_PGM_RSRC2:USER_SGPR: 2
; COMPUTE_PGM_RSRC2:TRAP_HANDLER: 0
; COMPUTE_PGM_RSRC2:TGID_X_EN: 1
; COMPUTE_PGM_RSRC2:TGID_Y_EN: 0
; COMPUTE_PGM_RSRC2:TGID_Z_EN: 0
; COMPUTE_PGM_RSRC2:TIDIG_COMP_CNT: 0
	.text
	.protected	_Z16updateBackgroundmPKhS0_Ph ; -- Begin function _Z16updateBackgroundmPKhS0_Ph
	.globl	_Z16updateBackgroundmPKhS0_Ph
	.p2align	8
	.type	_Z16updateBackgroundmPKhS0_Ph,@function
_Z16updateBackgroundmPKhS0_Ph:          ; @_Z16updateBackgroundmPKhS0_Ph
; %bb.0:
	s_clause 0x1
	s_load_b32 s4, s[0:1], 0x2c
	s_load_b64 s[2:3], s[0:1], 0x0
	s_bfe_u32 s5, ttmp6, 0x4000c
	s_and_b32 s6, ttmp6, 15
	s_add_co_i32 s5, s5, 1
	s_getreg_b32 s7, hwreg(HW_REG_IB_STS2, 6, 4)
	s_mul_i32 s5, ttmp9, s5
	v_mov_b32_e32 v1, 0
	s_add_co_i32 s6, s6, s5
	s_wait_kmcnt 0x0
	s_and_b32 s4, s4, 0xffff
	s_cmp_eq_u32 s7, 0
	s_cselect_b32 s5, ttmp9, s6
	s_delay_alu instid0(SALU_CYCLE_1) | instskip(NEXT) | instid1(VALU_DEP_1)
	v_mad_u32 v0, s5, s4, v0
	v_cmp_gt_u64_e32 vcc_lo, s[2:3], v[0:1]
	s_and_saveexec_b32 s2, vcc_lo
	s_cbranch_execz .LBB1_3
; %bb.1:
	s_load_b64 s[2:3], s[0:1], 0x10
	s_wait_kmcnt 0x0
	v_add_nc_u64_e32 v[2:3], s[2:3], v[0:1]
	global_load_u8 v2, v[2:3], off
	s_wait_loadcnt 0x0
	v_cmp_eq_u16_e32 vcc_lo, 0, v2
	s_and_b32 exec_lo, exec_lo, vcc_lo
	s_cbranch_execz .LBB1_3
; %bb.2:
	s_clause 0x1
	s_load_b64 s[2:3], s[0:1], 0x8
	s_load_b64 s[4:5], s[0:1], 0x18
	s_wait_kmcnt 0x0
	v_add_nc_u64_e32 v[2:3], s[2:3], v[0:1]
	v_add_nc_u64_e32 v[0:1], s[4:5], v[0:1]
	global_load_u8 v2, v[2:3], off
	global_load_u8 v4, v[0:1], off
	s_wait_loadcnt 0x1
	s_wait_xcnt 0x1
	v_cvt_f64_u32_e32 v[2:3], v2
	s_wait_loadcnt 0x0
	v_cvt_f64_u32_e32 v[4:5], v4
	s_delay_alu instid0(VALU_DEP_2) | instskip(NEXT) | instid1(VALU_DEP_1)
	v_mul_f64_e32 v[2:3], 0x3fb47ae147ae147b, v[2:3]
	v_fmamk_f64 v[2:3], v[4:5], 0x3fed70a3d70a3d71, v[2:3]
	s_delay_alu instid0(VALU_DEP_1)
	v_cvt_i32_f64_e32 v2, v[2:3]
	global_store_b8 v[0:1], v2, off
.LBB1_3:
	s_endpgm
	.section	.rodata,"a",@progbits
	.p2align	6, 0x0
	.amdhsa_kernel _Z16updateBackgroundmPKhS0_Ph
		.amdhsa_group_segment_fixed_size 0
		.amdhsa_private_segment_fixed_size 0
		.amdhsa_kernarg_size 288
		.amdhsa_user_sgpr_count 2
		.amdhsa_user_sgpr_dispatch_ptr 0
		.amdhsa_user_sgpr_queue_ptr 0
		.amdhsa_user_sgpr_kernarg_segment_ptr 1
		.amdhsa_user_sgpr_dispatch_id 0
		.amdhsa_user_sgpr_kernarg_preload_length 0
		.amdhsa_user_sgpr_kernarg_preload_offset 0
		.amdhsa_user_sgpr_private_segment_size 0
		.amdhsa_wavefront_size32 1
		.amdhsa_uses_dynamic_stack 0
		.amdhsa_enable_private_segment 0
		.amdhsa_system_sgpr_workgroup_id_x 1
		.amdhsa_system_sgpr_workgroup_id_y 0
		.amdhsa_system_sgpr_workgroup_id_z 0
		.amdhsa_system_sgpr_workgroup_info 0
		.amdhsa_system_vgpr_workitem_id 0
		.amdhsa_next_free_vgpr 6
		.amdhsa_next_free_sgpr 8
		.amdhsa_named_barrier_count 0
		.amdhsa_reserve_vcc 1
		.amdhsa_float_round_mode_32 0
		.amdhsa_float_round_mode_16_64 0
		.amdhsa_float_denorm_mode_32 3
		.amdhsa_float_denorm_mode_16_64 3
		.amdhsa_fp16_overflow 0
		.amdhsa_memory_ordered 1
		.amdhsa_forward_progress 1
		.amdhsa_inst_pref_size 3
		.amdhsa_round_robin_scheduling 0
		.amdhsa_exception_fp_ieee_invalid_op 0
		.amdhsa_exception_fp_denorm_src 0
		.amdhsa_exception_fp_ieee_div_zero 0
		.amdhsa_exception_fp_ieee_overflow 0
		.amdhsa_exception_fp_ieee_underflow 0
		.amdhsa_exception_fp_ieee_inexact 0
		.amdhsa_exception_int_div_zero 0
	.end_amdhsa_kernel
	.text
.Lfunc_end1:
	.size	_Z16updateBackgroundmPKhS0_Ph, .Lfunc_end1-_Z16updateBackgroundmPKhS0_Ph
                                        ; -- End function
	.set _Z16updateBackgroundmPKhS0_Ph.num_vgpr, 6
	.set _Z16updateBackgroundmPKhS0_Ph.num_agpr, 0
	.set _Z16updateBackgroundmPKhS0_Ph.numbered_sgpr, 8
	.set _Z16updateBackgroundmPKhS0_Ph.num_named_barrier, 0
	.set _Z16updateBackgroundmPKhS0_Ph.private_seg_size, 0
	.set _Z16updateBackgroundmPKhS0_Ph.uses_vcc, 1
	.set _Z16updateBackgroundmPKhS0_Ph.uses_flat_scratch, 0
	.set _Z16updateBackgroundmPKhS0_Ph.has_dyn_sized_stack, 0
	.set _Z16updateBackgroundmPKhS0_Ph.has_recursion, 0
	.set _Z16updateBackgroundmPKhS0_Ph.has_indirect_call, 0
	.section	.AMDGPU.csdata,"",@progbits
; Kernel info:
; codeLenInByte = 268
; TotalNumSgprs: 10
; NumVgprs: 6
; ScratchSize: 0
; MemoryBound: 0
; FloatMode: 240
; IeeeMode: 1
; LDSByteSize: 0 bytes/workgroup (compile time only)
; SGPRBlocks: 0
; VGPRBlocks: 0
; NumSGPRsForWavesPerEU: 10
; NumVGPRsForWavesPerEU: 6
; NamedBarCnt: 0
; Occupancy: 16
; WaveLimiterHint : 0
; COMPUTE_PGM_RSRC2:SCRATCH_EN: 0
; COMPUTE_PGM_RSRC2:USER_SGPR: 2
; COMPUTE_PGM_RSRC2:TRAP_HANDLER: 0
; COMPUTE_PGM_RSRC2:TGID_X_EN: 1
; COMPUTE_PGM_RSRC2:TGID_Y_EN: 0
; COMPUTE_PGM_RSRC2:TGID_Z_EN: 0
; COMPUTE_PGM_RSRC2:TIDIG_COMP_CNT: 0
	.text
	.protected	_Z15updateThresholdmPKhS0_S0_Ph ; -- Begin function _Z15updateThresholdmPKhS0_S0_Ph
	.globl	_Z15updateThresholdmPKhS0_S0_Ph
	.p2align	8
	.type	_Z15updateThresholdmPKhS0_S0_Ph,@function
_Z15updateThresholdmPKhS0_S0_Ph:        ; @_Z15updateThresholdmPKhS0_S0_Ph
; %bb.0:
	s_clause 0x1
	s_load_b32 s4, s[0:1], 0x34
	s_load_b64 s[2:3], s[0:1], 0x0
	s_bfe_u32 s5, ttmp6, 0x4000c
	s_and_b32 s6, ttmp6, 15
	s_add_co_i32 s5, s5, 1
	s_getreg_b32 s7, hwreg(HW_REG_IB_STS2, 6, 4)
	s_mul_i32 s5, ttmp9, s5
	v_mov_b32_e32 v1, 0
	s_add_co_i32 s6, s6, s5
	s_wait_kmcnt 0x0
	s_and_b32 s4, s4, 0xffff
	s_cmp_eq_u32 s7, 0
	s_cselect_b32 s5, ttmp9, s6
	s_delay_alu instid0(SALU_CYCLE_1) | instskip(NEXT) | instid1(VALU_DEP_1)
	v_mad_u32 v0, s5, s4, v0
	v_cmp_gt_u64_e32 vcc_lo, s[2:3], v[0:1]
	s_and_saveexec_b32 s2, vcc_lo
	s_cbranch_execz .LBB2_3
; %bb.1:
	s_load_b64 s[2:3], s[0:1], 0x10
	s_wait_kmcnt 0x0
	v_add_nc_u64_e32 v[2:3], s[2:3], v[0:1]
	global_load_u8 v2, v[2:3], off
	s_wait_loadcnt 0x0
	v_cmp_eq_u16_e32 vcc_lo, 0, v2
	s_and_b32 exec_lo, exec_lo, vcc_lo
	s_cbranch_execz .LBB2_3
; %bb.2:
	s_clause 0x1
	s_load_b64 s[2:3], s[0:1], 0x8
	s_load_b128 s[4:7], s[0:1], 0x18
	s_wait_kmcnt 0x0
	v_add_nc_u64_e32 v[2:3], s[2:3], v[0:1]
	v_add_nc_u64_e32 v[4:5], s[4:5], v[0:1]
	;; [unrolled: 1-line block ×3, first 2 shown]
	global_load_u8 v6, v[2:3], off
	global_load_u8 v7, v[4:5], off
	;; [unrolled: 1-line block ×3, first 2 shown]
	s_wait_loadcnt 0x1
	v_sub_nc_u32_e32 v2, v6, v7
	s_wait_loadcnt 0x0
	v_cvt_f64_u32_e32 v[4:5], v4
	s_delay_alu instid0(VALU_DEP_2) | instskip(NEXT) | instid1(VALU_DEP_1)
	v_cvt_f64_i32_e32 v[2:3], v2
	v_mul_f64_e32 v[2:3], 0x3fceb851eb851eb8, v[2:3]
	s_delay_alu instid0(VALU_DEP_1) | instskip(NEXT) | instid1(VALU_DEP_1)
	v_fmamk_f64 v[2:3], v[4:5], 0x3fed70a3d70a3d71, v[2:3]
	v_cvt_f32_f64_e32 v2, v[2:3]
	s_delay_alu instid0(VALU_DEP_1) | instskip(NEXT) | instid1(VALU_DEP_1)
	v_max_num_f32_e32 v2, 0x41a00000, v2
	v_cvt_i32_f32_e32 v2, v2
	global_store_b8 v[0:1], v2, off
.LBB2_3:
	s_endpgm
	.section	.rodata,"a",@progbits
	.p2align	6, 0x0
	.amdhsa_kernel _Z15updateThresholdmPKhS0_S0_Ph
		.amdhsa_group_segment_fixed_size 0
		.amdhsa_private_segment_fixed_size 0
		.amdhsa_kernarg_size 296
		.amdhsa_user_sgpr_count 2
		.amdhsa_user_sgpr_dispatch_ptr 0
		.amdhsa_user_sgpr_queue_ptr 0
		.amdhsa_user_sgpr_kernarg_segment_ptr 1
		.amdhsa_user_sgpr_dispatch_id 0
		.amdhsa_user_sgpr_kernarg_preload_length 0
		.amdhsa_user_sgpr_kernarg_preload_offset 0
		.amdhsa_user_sgpr_private_segment_size 0
		.amdhsa_wavefront_size32 1
		.amdhsa_uses_dynamic_stack 0
		.amdhsa_enable_private_segment 0
		.amdhsa_system_sgpr_workgroup_id_x 1
		.amdhsa_system_sgpr_workgroup_id_y 0
		.amdhsa_system_sgpr_workgroup_id_z 0
		.amdhsa_system_sgpr_workgroup_info 0
		.amdhsa_system_vgpr_workitem_id 0
		.amdhsa_next_free_vgpr 8
		.amdhsa_next_free_sgpr 8
		.amdhsa_named_barrier_count 0
		.amdhsa_reserve_vcc 1
		.amdhsa_float_round_mode_32 0
		.amdhsa_float_round_mode_16_64 0
		.amdhsa_float_denorm_mode_32 3
		.amdhsa_float_denorm_mode_16_64 3
		.amdhsa_fp16_overflow 0
		.amdhsa_memory_ordered 1
		.amdhsa_forward_progress 1
		.amdhsa_inst_pref_size 3
		.amdhsa_round_robin_scheduling 0
		.amdhsa_exception_fp_ieee_invalid_op 0
		.amdhsa_exception_fp_denorm_src 0
		.amdhsa_exception_fp_ieee_div_zero 0
		.amdhsa_exception_fp_ieee_overflow 0
		.amdhsa_exception_fp_ieee_underflow 0
		.amdhsa_exception_fp_ieee_inexact 0
		.amdhsa_exception_int_div_zero 0
	.end_amdhsa_kernel
	.text
.Lfunc_end2:
	.size	_Z15updateThresholdmPKhS0_S0_Ph, .Lfunc_end2-_Z15updateThresholdmPKhS0_S0_Ph
                                        ; -- End function
	.set _Z15updateThresholdmPKhS0_S0_Ph.num_vgpr, 8
	.set _Z15updateThresholdmPKhS0_S0_Ph.num_agpr, 0
	.set _Z15updateThresholdmPKhS0_S0_Ph.numbered_sgpr, 8
	.set _Z15updateThresholdmPKhS0_S0_Ph.num_named_barrier, 0
	.set _Z15updateThresholdmPKhS0_S0_Ph.private_seg_size, 0
	.set _Z15updateThresholdmPKhS0_S0_Ph.uses_vcc, 1
	.set _Z15updateThresholdmPKhS0_S0_Ph.uses_flat_scratch, 0
	.set _Z15updateThresholdmPKhS0_S0_Ph.has_dyn_sized_stack, 0
	.set _Z15updateThresholdmPKhS0_S0_Ph.has_recursion, 0
	.set _Z15updateThresholdmPKhS0_S0_Ph.has_indirect_call, 0
	.section	.AMDGPU.csdata,"",@progbits
; Kernel info:
; codeLenInByte = 300
; TotalNumSgprs: 10
; NumVgprs: 8
; ScratchSize: 0
; MemoryBound: 0
; FloatMode: 240
; IeeeMode: 1
; LDSByteSize: 0 bytes/workgroup (compile time only)
; SGPRBlocks: 0
; VGPRBlocks: 0
; NumSGPRsForWavesPerEU: 10
; NumVGPRsForWavesPerEU: 8
; NamedBarCnt: 0
; Occupancy: 16
; WaveLimiterHint : 0
; COMPUTE_PGM_RSRC2:SCRATCH_EN: 0
; COMPUTE_PGM_RSRC2:USER_SGPR: 2
; COMPUTE_PGM_RSRC2:TRAP_HANDLER: 0
; COMPUTE_PGM_RSRC2:TGID_X_EN: 1
; COMPUTE_PGM_RSRC2:TGID_Y_EN: 0
; COMPUTE_PGM_RSRC2:TGID_Z_EN: 0
; COMPUTE_PGM_RSRC2:TIDIG_COMP_CNT: 0
	.text
	.protected	_Z5mergemPKhS0_S0_PhS1_ ; -- Begin function _Z5mergemPKhS0_S0_PhS1_
	.globl	_Z5mergemPKhS0_S0_PhS1_
	.p2align	8
	.type	_Z5mergemPKhS0_S0_PhS1_,@function
_Z5mergemPKhS0_S0_PhS1_:                ; @_Z5mergemPKhS0_S0_PhS1_
; %bb.0:
	s_clause 0x1
	s_load_b32 s4, s[0:1], 0x3c
	s_load_b64 s[2:3], s[0:1], 0x0
	s_bfe_u32 s5, ttmp6, 0x4000c
	s_and_b32 s6, ttmp6, 15
	s_add_co_i32 s5, s5, 1
	s_getreg_b32 s7, hwreg(HW_REG_IB_STS2, 6, 4)
	s_mul_i32 s5, ttmp9, s5
	v_mov_b32_e32 v3, 0
	s_add_co_i32 s6, s6, s5
	s_wait_kmcnt 0x0
	s_and_b32 s4, s4, 0xffff
	s_cmp_eq_u32 s7, 0
	s_cselect_b32 s5, ttmp9, s6
	s_delay_alu instid0(SALU_CYCLE_1) | instskip(NEXT) | instid1(VALU_DEP_1)
	v_mad_u32 v2, s5, s4, v0
	v_cmp_gt_u64_e32 vcc_lo, s[2:3], v[2:3]
	s_and_saveexec_b32 s2, vcc_lo
	s_cbranch_execz .LBB3_4
; %bb.1:
	s_clause 0x1
	s_load_b128 s[4:7], s[0:1], 0x8
	s_load_b64 s[2:3], s[0:1], 0x20
	s_wait_kmcnt 0x0
	v_add_nc_u64_e32 v[0:1], s[4:5], v[2:3]
	v_add_nc_u64_e32 v[6:7], s[6:7], v[2:3]
	global_load_u8 v4, v[0:1], off
	global_load_u8 v5, v[6:7], off
	s_wait_xcnt 0x1
	v_add_nc_u64_e32 v[0:1], s[2:3], v[2:3]
	global_load_u8 v6, v[0:1], off
	s_wait_loadcnt 0x1
	v_min_u16 v7, v4, v5
	v_max_u16 v5, v4, v5
	s_delay_alu instid0(VALU_DEP_1) | instskip(NEXT) | instid1(VALU_DEP_1)
	v_sub_nc_u16 v5, v5, v7
	v_and_b32_e32 v7, 0xffff, v5
	s_wait_loadcnt 0x0
	v_and_b32_e32 v5, 0xff, v6
	s_delay_alu instid0(VALU_DEP_1)
	v_cmp_le_u32_e32 vcc_lo, v7, v5
	s_and_b32 exec_lo, exec_lo, vcc_lo
	s_cbranch_execz .LBB3_4
; %bb.2:
	s_load_b64 s[2:3], s[0:1], 0x18
	s_wait_kmcnt 0x0
	v_add_nc_u64_e32 v[6:7], s[2:3], v[2:3]
	global_load_u8 v7, v[6:7], off
	s_wait_xcnt 0x0
	v_and_b32_e32 v6, 0xffff, v4
	s_wait_loadcnt 0x0
	s_delay_alu instid0(VALU_DEP_1) | instskip(NEXT) | instid1(VALU_DEP_1)
	v_sub_nc_u32_e32 v7, v6, v7
	v_sub_nc_u32_e32 v8, 0, v7
	s_delay_alu instid0(VALU_DEP_1) | instskip(NEXT) | instid1(VALU_DEP_1)
	v_max_i32_e32 v7, v7, v8
	v_cmp_le_u32_e32 vcc_lo, v7, v5
	s_and_b32 exec_lo, exec_lo, vcc_lo
	s_cbranch_execz .LBB3_4
; %bb.3:
	s_load_b64 s[0:1], s[0:1], 0x28
	v_and_b32_e32 v4, 0xff, v4
	s_delay_alu instid0(VALU_DEP_1) | instskip(NEXT) | instid1(VALU_DEP_1)
	v_and_b32_e32 v4, 0xffff, v4
	v_cvt_f64_u32_e32 v[10:11], v4
	s_wait_kmcnt 0x0
	v_add_nc_u64_e32 v[2:3], s[0:1], v[2:3]
	global_load_u8 v7, v[2:3], off
	s_wait_loadcnt 0x0
	v_cvt_f64_u32_e32 v[8:9], v7
	s_delay_alu instid0(VALU_DEP_1) | instskip(NEXT) | instid1(VALU_DEP_1)
	v_mul_f64_e32 v[8:9], 0x3fed70a3d70a3d71, v[8:9]
	v_fmamk_f64 v[8:9], v[10:11], 0x3fb47ae147ae147b, v[8:9]
	s_delay_alu instid0(VALU_DEP_1) | instskip(NEXT) | instid1(VALU_DEP_1)
	v_cvt_i32_f64_e32 v8, v[8:9]
	v_sub_nc_u32_e32 v4, v6, v8
	s_delay_alu instid0(VALU_DEP_1) | instskip(SKIP_1) | instid1(VALU_DEP_1)
	v_cvt_f64_i32_e32 v[6:7], v4
	v_and_b32_e32 v4, 0xffff, v5
	v_cvt_f64_u32_e32 v[4:5], v4
	s_delay_alu instid0(VALU_DEP_3) | instskip(NEXT) | instid1(VALU_DEP_1)
	v_mul_f64_e32 v[6:7], 0x3fceb851eb851eb8, v[6:7]
	v_fmac_f64_e32 v[6:7], 0x3fed70a3d70a3d71, v[4:5]
	s_delay_alu instid0(VALU_DEP_1) | instskip(NEXT) | instid1(VALU_DEP_1)
	v_cvt_f32_f64_e32 v4, v[6:7]
	v_max_num_f32_e32 v4, 0x41a00000, v4
	s_delay_alu instid0(VALU_DEP_1)
	v_cvt_i32_f32_e32 v4, v4
	global_store_b8 v[2:3], v8, off
	global_store_b8 v[0:1], v4, off
.LBB3_4:
	s_endpgm
	.section	.rodata,"a",@progbits
	.p2align	6, 0x0
	.amdhsa_kernel _Z5mergemPKhS0_S0_PhS1_
		.amdhsa_group_segment_fixed_size 0
		.amdhsa_private_segment_fixed_size 0
		.amdhsa_kernarg_size 304
		.amdhsa_user_sgpr_count 2
		.amdhsa_user_sgpr_dispatch_ptr 0
		.amdhsa_user_sgpr_queue_ptr 0
		.amdhsa_user_sgpr_kernarg_segment_ptr 1
		.amdhsa_user_sgpr_dispatch_id 0
		.amdhsa_user_sgpr_kernarg_preload_length 0
		.amdhsa_user_sgpr_kernarg_preload_offset 0
		.amdhsa_user_sgpr_private_segment_size 0
		.amdhsa_wavefront_size32 1
		.amdhsa_uses_dynamic_stack 0
		.amdhsa_enable_private_segment 0
		.amdhsa_system_sgpr_workgroup_id_x 1
		.amdhsa_system_sgpr_workgroup_id_y 0
		.amdhsa_system_sgpr_workgroup_id_z 0
		.amdhsa_system_sgpr_workgroup_info 0
		.amdhsa_system_vgpr_workitem_id 0
		.amdhsa_next_free_vgpr 12
		.amdhsa_next_free_sgpr 8
		.amdhsa_named_barrier_count 0
		.amdhsa_reserve_vcc 1
		.amdhsa_float_round_mode_32 0
		.amdhsa_float_round_mode_16_64 0
		.amdhsa_float_denorm_mode_32 3
		.amdhsa_float_denorm_mode_16_64 3
		.amdhsa_fp16_overflow 0
		.amdhsa_memory_ordered 1
		.amdhsa_forward_progress 1
		.amdhsa_inst_pref_size 5
		.amdhsa_round_robin_scheduling 0
		.amdhsa_exception_fp_ieee_invalid_op 0
		.amdhsa_exception_fp_denorm_src 0
		.amdhsa_exception_fp_ieee_div_zero 0
		.amdhsa_exception_fp_ieee_overflow 0
		.amdhsa_exception_fp_ieee_underflow 0
		.amdhsa_exception_fp_ieee_inexact 0
		.amdhsa_exception_int_div_zero 0
	.end_amdhsa_kernel
	.text
.Lfunc_end3:
	.size	_Z5mergemPKhS0_S0_PhS1_, .Lfunc_end3-_Z5mergemPKhS0_S0_PhS1_
                                        ; -- End function
	.set _Z5mergemPKhS0_S0_PhS1_.num_vgpr, 12
	.set _Z5mergemPKhS0_S0_PhS1_.num_agpr, 0
	.set _Z5mergemPKhS0_S0_PhS1_.numbered_sgpr, 8
	.set _Z5mergemPKhS0_S0_PhS1_.num_named_barrier, 0
	.set _Z5mergemPKhS0_S0_PhS1_.private_seg_size, 0
	.set _Z5mergemPKhS0_S0_PhS1_.uses_vcc, 1
	.set _Z5mergemPKhS0_S0_PhS1_.uses_flat_scratch, 0
	.set _Z5mergemPKhS0_S0_PhS1_.has_dyn_sized_stack, 0
	.set _Z5mergemPKhS0_S0_PhS1_.has_recursion, 0
	.set _Z5mergemPKhS0_S0_PhS1_.has_indirect_call, 0
	.section	.AMDGPU.csdata,"",@progbits
; Kernel info:
; codeLenInByte = 516
; TotalNumSgprs: 10
; NumVgprs: 12
; ScratchSize: 0
; MemoryBound: 0
; FloatMode: 240
; IeeeMode: 1
; LDSByteSize: 0 bytes/workgroup (compile time only)
; SGPRBlocks: 0
; VGPRBlocks: 0
; NumSGPRsForWavesPerEU: 10
; NumVGPRsForWavesPerEU: 12
; NamedBarCnt: 0
; Occupancy: 16
; WaveLimiterHint : 0
; COMPUTE_PGM_RSRC2:SCRATCH_EN: 0
; COMPUTE_PGM_RSRC2:USER_SGPR: 2
; COMPUTE_PGM_RSRC2:TRAP_HANDLER: 0
; COMPUTE_PGM_RSRC2:TGID_X_EN: 1
; COMPUTE_PGM_RSRC2:TGID_Y_EN: 0
; COMPUTE_PGM_RSRC2:TGID_Z_EN: 0
; COMPUTE_PGM_RSRC2:TIDIG_COMP_CNT: 0
	.text
	.p2alignl 7, 3214868480
	.fill 96, 4, 3214868480
	.section	.AMDGPU.gpr_maximums,"",@progbits
	.set amdgpu.max_num_vgpr, 0
	.set amdgpu.max_num_agpr, 0
	.set amdgpu.max_num_sgpr, 0
	.text
	.type	__hip_cuid_c94fa47cec1d83b8,@object ; @__hip_cuid_c94fa47cec1d83b8
	.section	.bss,"aw",@nobits
	.globl	__hip_cuid_c94fa47cec1d83b8
__hip_cuid_c94fa47cec1d83b8:
	.byte	0                               ; 0x0
	.size	__hip_cuid_c94fa47cec1d83b8, 1

	.ident	"AMD clang version 22.0.0git (https://github.com/RadeonOpenCompute/llvm-project roc-7.2.4 26084 f58b06dce1f9c15707c5f808fd002e18c2accf7e)"
	.section	".note.GNU-stack","",@progbits
	.addrsig
	.addrsig_sym __hip_cuid_c94fa47cec1d83b8
	.amdgpu_metadata
---
amdhsa.kernels:
  - .args:
      - .offset:         0
        .size:           8
        .value_kind:     by_value
      - .actual_access:  read_only
        .address_space:  global
        .offset:         8
        .size:           8
        .value_kind:     global_buffer
      - .actual_access:  read_only
        .address_space:  global
        .offset:         16
        .size:           8
        .value_kind:     global_buffer
      - .actual_access:  read_only
        .address_space:  global
        .offset:         24
        .size:           8
        .value_kind:     global_buffer
      - .actual_access:  read_only
        .address_space:  global
        .offset:         32
        .size:           8
        .value_kind:     global_buffer
      - .actual_access:  write_only
        .address_space:  global
        .offset:         40
        .size:           8
        .value_kind:     global_buffer
      - .offset:         48
        .size:           4
        .value_kind:     hidden_block_count_x
      - .offset:         52
        .size:           4
        .value_kind:     hidden_block_count_y
      - .offset:         56
        .size:           4
        .value_kind:     hidden_block_count_z
      - .offset:         60
        .size:           2
        .value_kind:     hidden_group_size_x
      - .offset:         62
        .size:           2
        .value_kind:     hidden_group_size_y
      - .offset:         64
        .size:           2
        .value_kind:     hidden_group_size_z
      - .offset:         66
        .size:           2
        .value_kind:     hidden_remainder_x
      - .offset:         68
        .size:           2
        .value_kind:     hidden_remainder_y
      - .offset:         70
        .size:           2
        .value_kind:     hidden_remainder_z
      - .offset:         88
        .size:           8
        .value_kind:     hidden_global_offset_x
      - .offset:         96
        .size:           8
        .value_kind:     hidden_global_offset_y
      - .offset:         104
        .size:           8
        .value_kind:     hidden_global_offset_z
      - .offset:         112
        .size:           2
        .value_kind:     hidden_grid_dims
    .group_segment_fixed_size: 0
    .kernarg_segment_align: 8
    .kernarg_segment_size: 304
    .language:       OpenCL C
    .language_version:
      - 2
      - 0
    .max_flat_workgroup_size: 1024
    .name:           _Z16findMovingPixelsmPKhS0_S0_S0_Ph
    .private_segment_fixed_size: 0
    .sgpr_count:     14
    .sgpr_spill_count: 0
    .symbol:         _Z16findMovingPixelsmPKhS0_S0_S0_Ph.kd
    .uniform_work_group_size: 1
    .uses_dynamic_stack: false
    .vgpr_count:     9
    .vgpr_spill_count: 0
    .wavefront_size: 32
  - .args:
      - .offset:         0
        .size:           8
        .value_kind:     by_value
      - .actual_access:  read_only
        .address_space:  global
        .offset:         8
        .size:           8
        .value_kind:     global_buffer
      - .actual_access:  read_only
        .address_space:  global
        .offset:         16
        .size:           8
        .value_kind:     global_buffer
      - .address_space:  global
        .offset:         24
        .size:           8
        .value_kind:     global_buffer
      - .offset:         32
        .size:           4
        .value_kind:     hidden_block_count_x
      - .offset:         36
        .size:           4
        .value_kind:     hidden_block_count_y
      - .offset:         40
        .size:           4
        .value_kind:     hidden_block_count_z
      - .offset:         44
        .size:           2
        .value_kind:     hidden_group_size_x
      - .offset:         46
        .size:           2
        .value_kind:     hidden_group_size_y
      - .offset:         48
        .size:           2
        .value_kind:     hidden_group_size_z
      - .offset:         50
        .size:           2
        .value_kind:     hidden_remainder_x
      - .offset:         52
        .size:           2
        .value_kind:     hidden_remainder_y
      - .offset:         54
        .size:           2
        .value_kind:     hidden_remainder_z
      - .offset:         72
        .size:           8
        .value_kind:     hidden_global_offset_x
      - .offset:         80
        .size:           8
        .value_kind:     hidden_global_offset_y
      - .offset:         88
        .size:           8
        .value_kind:     hidden_global_offset_z
      - .offset:         96
        .size:           2
        .value_kind:     hidden_grid_dims
    .group_segment_fixed_size: 0
    .kernarg_segment_align: 8
    .kernarg_segment_size: 288
    .language:       OpenCL C
    .language_version:
      - 2
      - 0
    .max_flat_workgroup_size: 1024
    .name:           _Z16updateBackgroundmPKhS0_Ph
    .private_segment_fixed_size: 0
    .sgpr_count:     10
    .sgpr_spill_count: 0
    .symbol:         _Z16updateBackgroundmPKhS0_Ph.kd
    .uniform_work_group_size: 1
    .uses_dynamic_stack: false
    .vgpr_count:     6
    .vgpr_spill_count: 0
    .wavefront_size: 32
  - .args:
      - .offset:         0
        .size:           8
        .value_kind:     by_value
      - .actual_access:  read_only
        .address_space:  global
        .offset:         8
        .size:           8
        .value_kind:     global_buffer
      - .actual_access:  read_only
        .address_space:  global
        .offset:         16
        .size:           8
        .value_kind:     global_buffer
      - .actual_access:  read_only
        .address_space:  global
        .offset:         24
        .size:           8
        .value_kind:     global_buffer
      - .address_space:  global
        .offset:         32
        .size:           8
        .value_kind:     global_buffer
      - .offset:         40
        .size:           4
        .value_kind:     hidden_block_count_x
      - .offset:         44
        .size:           4
        .value_kind:     hidden_block_count_y
      - .offset:         48
        .size:           4
        .value_kind:     hidden_block_count_z
      - .offset:         52
        .size:           2
        .value_kind:     hidden_group_size_x
      - .offset:         54
        .size:           2
        .value_kind:     hidden_group_size_y
      - .offset:         56
        .size:           2
        .value_kind:     hidden_group_size_z
      - .offset:         58
        .size:           2
        .value_kind:     hidden_remainder_x
      - .offset:         60
        .size:           2
        .value_kind:     hidden_remainder_y
      - .offset:         62
        .size:           2
        .value_kind:     hidden_remainder_z
      - .offset:         80
        .size:           8
        .value_kind:     hidden_global_offset_x
      - .offset:         88
        .size:           8
        .value_kind:     hidden_global_offset_y
      - .offset:         96
        .size:           8
        .value_kind:     hidden_global_offset_z
      - .offset:         104
        .size:           2
        .value_kind:     hidden_grid_dims
    .group_segment_fixed_size: 0
    .kernarg_segment_align: 8
    .kernarg_segment_size: 296
    .language:       OpenCL C
    .language_version:
      - 2
      - 0
    .max_flat_workgroup_size: 1024
    .name:           _Z15updateThresholdmPKhS0_S0_Ph
    .private_segment_fixed_size: 0
    .sgpr_count:     10
    .sgpr_spill_count: 0
    .symbol:         _Z15updateThresholdmPKhS0_S0_Ph.kd
    .uniform_work_group_size: 1
    .uses_dynamic_stack: false
    .vgpr_count:     8
    .vgpr_spill_count: 0
    .wavefront_size: 32
  - .args:
      - .offset:         0
        .size:           8
        .value_kind:     by_value
      - .actual_access:  read_only
        .address_space:  global
        .offset:         8
        .size:           8
        .value_kind:     global_buffer
      - .actual_access:  read_only
        .address_space:  global
        .offset:         16
        .size:           8
        .value_kind:     global_buffer
      - .actual_access:  read_only
        .address_space:  global
        .offset:         24
        .size:           8
        .value_kind:     global_buffer
      - .address_space:  global
        .offset:         32
        .size:           8
        .value_kind:     global_buffer
      - .address_space:  global
        .offset:         40
        .size:           8
        .value_kind:     global_buffer
      - .offset:         48
        .size:           4
        .value_kind:     hidden_block_count_x
      - .offset:         52
        .size:           4
        .value_kind:     hidden_block_count_y
      - .offset:         56
        .size:           4
        .value_kind:     hidden_block_count_z
      - .offset:         60
        .size:           2
        .value_kind:     hidden_group_size_x
      - .offset:         62
        .size:           2
        .value_kind:     hidden_group_size_y
      - .offset:         64
        .size:           2
        .value_kind:     hidden_group_size_z
      - .offset:         66
        .size:           2
        .value_kind:     hidden_remainder_x
      - .offset:         68
        .size:           2
        .value_kind:     hidden_remainder_y
      - .offset:         70
        .size:           2
        .value_kind:     hidden_remainder_z
      - .offset:         88
        .size:           8
        .value_kind:     hidden_global_offset_x
      - .offset:         96
        .size:           8
        .value_kind:     hidden_global_offset_y
      - .offset:         104
        .size:           8
        .value_kind:     hidden_global_offset_z
      - .offset:         112
        .size:           2
        .value_kind:     hidden_grid_dims
    .group_segment_fixed_size: 0
    .kernarg_segment_align: 8
    .kernarg_segment_size: 304
    .language:       OpenCL C
    .language_version:
      - 2
      - 0
    .max_flat_workgroup_size: 1024
    .name:           _Z5mergemPKhS0_S0_PhS1_
    .private_segment_fixed_size: 0
    .sgpr_count:     10
    .sgpr_spill_count: 0
    .symbol:         _Z5mergemPKhS0_S0_PhS1_.kd
    .uniform_work_group_size: 1
    .uses_dynamic_stack: false
    .vgpr_count:     12
    .vgpr_spill_count: 0
    .wavefront_size: 32
amdhsa.target:   amdgcn-amd-amdhsa--gfx1250
amdhsa.version:
  - 1
  - 2
...

	.end_amdgpu_metadata
